;; amdgpu-corpus repo=zjin-lcf/HeCBench kind=compiled arch=gfx1100 opt=O3
	.text
	.amdgcn_target "amdgcn-amd-amdhsa--gfx1100"
	.amdhsa_code_object_version 6
	.protected	_Z12crc64_kernelPmS_PKhPKmS3_mi ; -- Begin function _Z12crc64_kernelPmS_PKhPKmS3_mi
	.globl	_Z12crc64_kernelPmS_PKhPKmS3_mi
	.p2align	8
	.type	_Z12crc64_kernelPmS_PKhPKmS3_mi,@function
_Z12crc64_kernelPmS_PKhPKmS3_mi:        ; @_Z12crc64_kernelPmS_PKhPKmS3_mi
; %bb.0:
	s_clause 0x2
	s_load_b32 s12, s[0:1], 0x30
	s_load_b128 s[16:19], s[0:1], 0x20
	s_load_b256 s[4:11], s[0:1], 0x0
	s_waitcnt lgkmcnt(0)
	s_ashr_i32 s13, s12, 31
	s_delay_alu instid0(SALU_CYCLE_1) | instskip(SKIP_1) | instid1(SALU_CYCLE_1)
	s_or_b64 s[20:21], s[18:19], s[12:13]
	s_mov_b32 s20, 0
	s_cmp_lg_u64 s[20:21], 0
	s_cbranch_scc0 .LBB0_19
; %bb.1:
	v_cvt_f32_u32_e32 v1, s12
	v_cvt_f32_u32_e32 v2, s13
	s_sub_u32 s14, 0, s12
	s_subb_u32 s21, 0, s13
	s_delay_alu instid0(VALU_DEP_1) | instskip(NEXT) | instid1(VALU_DEP_1)
	v_fmamk_f32 v1, v2, 0x4f800000, v1
	v_rcp_f32_e32 v1, v1
	s_waitcnt_depctr 0xfff
	v_mul_f32_e32 v1, 0x5f7ffffc, v1
	s_delay_alu instid0(VALU_DEP_1) | instskip(NEXT) | instid1(VALU_DEP_1)
	v_mul_f32_e32 v2, 0x2f800000, v1
	v_trunc_f32_e32 v2, v2
	s_delay_alu instid0(VALU_DEP_1) | instskip(SKIP_1) | instid1(VALU_DEP_2)
	v_fmamk_f32 v1, v2, 0xcf800000, v1
	v_cvt_u32_f32_e32 v2, v2
	v_cvt_u32_f32_e32 v1, v1
	s_delay_alu instid0(VALU_DEP_2) | instskip(NEXT) | instid1(VALU_DEP_2)
	v_readfirstlane_b32 s2, v2
	v_readfirstlane_b32 s3, v1
	s_delay_alu instid0(VALU_DEP_2) | instskip(NEXT) | instid1(VALU_DEP_1)
	s_mul_i32 s22, s14, s2
	s_mul_hi_u32 s24, s14, s3
	s_mul_i32 s23, s21, s3
	s_add_i32 s22, s24, s22
	s_mul_i32 s25, s14, s3
	s_add_i32 s22, s22, s23
	s_mul_hi_u32 s24, s3, s25
	s_mul_hi_u32 s26, s2, s25
	s_mul_i32 s23, s2, s25
	s_mul_hi_u32 s25, s3, s22
	s_mul_i32 s3, s3, s22
	s_mul_hi_u32 s27, s2, s22
	s_add_u32 s3, s24, s3
	s_addc_u32 s24, 0, s25
	s_add_u32 s3, s3, s23
	s_mul_i32 s22, s2, s22
	s_addc_u32 s3, s24, s26
	s_addc_u32 s23, s27, 0
	s_add_u32 s3, s3, s22
	s_addc_u32 s22, 0, s23
	v_add_co_u32 v1, s3, v1, s3
	s_delay_alu instid0(VALU_DEP_1) | instskip(SKIP_1) | instid1(VALU_DEP_1)
	s_cmp_lg_u32 s3, 0
	s_addc_u32 s2, s2, s22
	v_readfirstlane_b32 s3, v1
	s_mul_i32 s22, s14, s2
	s_delay_alu instid0(VALU_DEP_1)
	s_mul_hi_u32 s23, s14, s3
	s_mul_i32 s21, s21, s3
	s_add_i32 s22, s23, s22
	s_mul_i32 s14, s14, s3
	s_add_i32 s22, s22, s21
	s_mul_hi_u32 s23, s2, s14
	s_mul_i32 s24, s2, s14
	s_mul_hi_u32 s14, s3, s14
	s_mul_hi_u32 s25, s3, s22
	s_mul_i32 s3, s3, s22
	s_mul_hi_u32 s21, s2, s22
	s_add_u32 s3, s14, s3
	s_addc_u32 s14, 0, s25
	s_add_u32 s3, s3, s24
	s_mul_i32 s22, s2, s22
	s_addc_u32 s3, s14, s23
	s_addc_u32 s14, s21, 0
	s_add_u32 s3, s3, s22
	s_addc_u32 s14, 0, s14
	v_add_co_u32 v1, s3, v1, s3
	s_delay_alu instid0(VALU_DEP_1) | instskip(SKIP_1) | instid1(VALU_DEP_1)
	s_cmp_lg_u32 s3, 0
	s_addc_u32 s2, s2, s14
	v_readfirstlane_b32 s3, v1
	s_mul_i32 s21, s18, s2
	s_mul_hi_u32 s14, s18, s2
	s_mul_hi_u32 s22, s19, s2
	s_mul_i32 s2, s19, s2
	s_mul_hi_u32 s23, s18, s3
	s_mul_hi_u32 s24, s19, s3
	s_mul_i32 s3, s19, s3
	s_add_u32 s21, s23, s21
	s_addc_u32 s14, 0, s14
	s_add_u32 s3, s21, s3
	s_addc_u32 s3, s14, s24
	s_addc_u32 s14, s22, 0
	s_add_u32 s3, s3, s2
	s_addc_u32 s14, 0, s14
	s_mul_hi_u32 s2, s12, s3
	s_mul_i32 s22, s12, s14
	s_mul_i32 s23, s12, s3
	s_add_i32 s2, s2, s22
	v_sub_co_u32 v1, s22, s18, s23
	s_mul_i32 s21, s13, s3
	s_delay_alu instid0(SALU_CYCLE_1) | instskip(NEXT) | instid1(VALU_DEP_1)
	s_add_i32 s2, s2, s21
	v_sub_co_u32 v2, s23, v1, s12
	s_sub_i32 s21, s19, s2
	s_cmp_lg_u32 s22, 0
	s_subb_u32 s21, s21, s13
	s_cmp_lg_u32 s23, 0
	v_cmp_le_u32_e32 vcc_lo, s12, v2
	s_subb_u32 s21, s21, 0
	s_delay_alu instid0(SALU_CYCLE_1)
	s_cmp_ge_u32 s21, s13
	v_cndmask_b32_e64 v2, 0, -1, vcc_lo
	s_cselect_b32 s23, -1, 0
	s_cmp_eq_u32 s21, s13
	s_cselect_b32 vcc_lo, -1, 0
	s_add_u32 s21, s3, 1
	v_cndmask_b32_e32 v2, s23, v2, vcc_lo
	s_addc_u32 s23, s14, 0
	s_add_u32 s24, s3, 2
	s_addc_u32 s25, s14, 0
	v_mov_b32_e32 v3, s24
	s_cmp_lg_u32 s22, 0
	v_cmp_le_u32_e32 vcc_lo, s12, v1
	s_subb_u32 s2, s19, s2
	s_delay_alu instid0(SALU_CYCLE_1)
	s_cmp_ge_u32 s2, s13
	v_cndmask_b32_e64 v1, 0, -1, vcc_lo
	s_cselect_b32 s22, -1, 0
	s_cmp_eq_u32 s2, s13
	v_cmp_ne_u32_e32 vcc_lo, 0, v2
	s_cselect_b32 s2, -1, 0
	v_mov_b32_e32 v2, s25
	v_cndmask_b32_e64 v1, s22, v1, s2
	v_cndmask_b32_e32 v3, s21, v3, vcc_lo
	s_delay_alu instid0(VALU_DEP_3) | instskip(NEXT) | instid1(VALU_DEP_3)
	v_cndmask_b32_e32 v2, s23, v2, vcc_lo
	v_cmp_ne_u32_e32 vcc_lo, 0, v1
	s_delay_alu instid0(VALU_DEP_2) | instskip(NEXT) | instid1(VALU_DEP_4)
	v_cndmask_b32_e32 v2, s14, v2, vcc_lo
	v_cndmask_b32_e32 v1, s3, v3, vcc_lo
	s_load_b32 s0, s[0:1], 0x44
	s_and_not1_b32 vcc_lo, exec_lo, s20
	s_cbranch_vccnz .LBB0_3
.LBB0_2:
	v_cvt_f32_u32_e32 v1, s12
	s_sub_i32 s2, 0, s12
	s_delay_alu instid0(VALU_DEP_1) | instskip(SKIP_2) | instid1(VALU_DEP_1)
	v_rcp_iflag_f32_e32 v1, v1
	s_waitcnt_depctr 0xfff
	v_mul_f32_e32 v1, 0x4f7ffffe, v1
	v_cvt_u32_f32_e32 v1, v1
	s_delay_alu instid0(VALU_DEP_1) | instskip(NEXT) | instid1(VALU_DEP_1)
	v_readfirstlane_b32 s1, v1
	s_mul_i32 s2, s2, s1
	s_delay_alu instid0(SALU_CYCLE_1) | instskip(NEXT) | instid1(SALU_CYCLE_1)
	s_mul_hi_u32 s2, s1, s2
	s_add_i32 s1, s1, s2
	s_delay_alu instid0(SALU_CYCLE_1) | instskip(NEXT) | instid1(SALU_CYCLE_1)
	s_mul_hi_u32 s1, s18, s1
	s_mul_i32 s2, s1, s12
	s_add_i32 s3, s1, 1
	s_sub_i32 s2, s18, s2
	s_delay_alu instid0(SALU_CYCLE_1)
	s_sub_i32 s13, s2, s12
	s_cmp_ge_u32 s2, s12
	s_cselect_b32 s1, s3, s1
	s_cselect_b32 s2, s13, s2
	s_add_i32 s13, s1, 1
	s_cmp_ge_u32 s2, s12
	s_mov_b32 s3, 0
	s_cselect_b32 s2, s13, s1
	s_delay_alu instid0(SALU_CYCLE_1)
	v_dual_mov_b32 v1, s2 :: v_dual_mov_b32 v2, s3
.LBB0_3:
	s_waitcnt lgkmcnt(0)
	s_and_b32 s0, 0xffff, s0
	v_mov_b32_e32 v12, -1
	s_delay_alu instid0(VALU_DEP_2) | instskip(SKIP_4) | instid1(VALU_DEP_2)
	v_mad_u64_u32 v[3:4], null, s15, s0, v[0:1]
	s_add_i32 s0, s12, -1
	s_add_u32 s1, s8, s18
	s_addc_u32 s2, s9, s19
	v_mov_b32_e32 v13, -1
	v_ashrrev_i32_e32 v4, 31, v3
	v_mul_lo_u32 v0, v2, v3
	v_mad_u64_u32 v[8:9], null, v1, v3, s[8:9]
	s_delay_alu instid0(VALU_DEP_3) | instskip(NEXT) | instid1(VALU_DEP_1)
	v_mul_lo_u32 v5, v1, v4
	v_add3_u32 v9, v0, v9, v5
	s_delay_alu instid0(VALU_DEP_3) | instskip(SKIP_1) | instid1(VALU_DEP_3)
	v_add_co_u32 v0, vcc_lo, v8, v1
	v_lshlrev_b64 v[4:5], 3, v[3:4]
	v_add_co_ci_u32_e32 v1, vcc_lo, v9, v2, vcc_lo
	v_cmp_eq_u32_e32 vcc_lo, s0, v3
	s_delay_alu instid0(VALU_DEP_4) | instskip(NEXT) | instid1(VALU_DEP_3)
	v_cndmask_b32_e64 v6, v0, s1, vcc_lo
	v_cndmask_b32_e64 v7, v1, s2, vcc_lo
	s_mov_b32 s1, exec_lo
	s_delay_alu instid0(VALU_DEP_2) | instskip(NEXT) | instid1(VALU_DEP_2)
	v_sub_co_u32 v0, vcc_lo, v6, v8
	v_sub_co_ci_u32_e32 v1, vcc_lo, v7, v9, vcc_lo
	v_add_co_u32 v2, vcc_lo, s4, v4
	v_add_co_ci_u32_e32 v3, vcc_lo, s5, v5, vcc_lo
	global_store_b64 v[2:3], v[0:1], off
	v_cmpx_lt_i64_e32 0, v[0:1]
	s_cbranch_execz .LBB0_9
; %bb.4:
	v_dual_mov_b32 v12, -1 :: v_dual_mov_b32 v1, 0
	v_mov_b32_e32 v13, -1
	s_mov_b32 s2, 0
                                        ; implicit-def: $sgpr3
	s_set_inst_prefetch_distance 0x1
	s_branch .LBB0_6
	.p2align	6
.LBB0_5:                                ;   in Loop: Header=BB0_6 Depth=1
	s_or_b32 exec_lo, exec_lo, s0
	s_delay_alu instid0(SALU_CYCLE_1) | instskip(NEXT) | instid1(SALU_CYCLE_1)
	s_and_b32 s0, exec_lo, s3
	s_or_b32 s2, s0, s2
	s_delay_alu instid0(SALU_CYCLE_1)
	s_and_not1_b32 exec_lo, exec_lo, s2
	s_cbranch_execz .LBB0_8
.LBB0_6:                                ; =>This Inner Loop Header: Depth=1
	v_sub_co_u32 v2, vcc_lo, v6, v8
	v_and_b32_e32 v0, 3, v8
	v_sub_co_ci_u32_e32 v3, vcc_lo, v7, v9, vcc_lo
	s_or_b32 s3, s3, exec_lo
	s_delay_alu instid0(VALU_DEP_2) | instskip(NEXT) | instid1(VALU_DEP_2)
	v_cmp_ne_u64_e32 vcc_lo, 0, v[0:1]
	v_cmp_gt_i64_e64 s0, 20, v[2:3]
	s_delay_alu instid0(VALU_DEP_1) | instskip(NEXT) | instid1(SALU_CYCLE_1)
	s_or_b32 s4, vcc_lo, s0
	s_and_saveexec_b32 s0, s4
	s_cbranch_execz .LBB0_5
; %bb.7:                                ;   in Loop: Header=BB0_6 Depth=1
	global_load_u8 v0, v[8:9], off
	v_add_co_u32 v8, vcc_lo, v8, 1
	v_add_co_ci_u32_e32 v9, vcc_lo, 0, v9, vcc_lo
	v_lshrrev_b64 v[10:11], 8, v[12:13]
	s_and_not1_b32 s3, s3, exec_lo
	s_delay_alu instid0(VALU_DEP_2) | instskip(SKIP_1) | instid1(SALU_CYCLE_1)
	v_cmp_ge_u64_e32 vcc_lo, v[8:9], v[6:7]
	s_and_b32 s4, vcc_lo, exec_lo
	s_or_b32 s3, s3, s4
	s_waitcnt vmcnt(0)
	v_xor_b32_e32 v0, v0, v12
	s_delay_alu instid0(VALU_DEP_1) | instskip(NEXT) | instid1(VALU_DEP_1)
	v_and_b32_e32 v0, 0xff, v0
	v_lshl_or_b32 v0, v0, 3, 0x1800
	global_load_b64 v[2:3], v0, s[10:11]
	s_waitcnt vmcnt(0)
	v_xor_b32_e32 v13, v3, v11
	v_xor_b32_e32 v12, v2, v10
	s_branch .LBB0_5
.LBB0_8:
	s_set_inst_prefetch_distance 0x2
	s_or_b32 exec_lo, exec_lo, s2
.LBB0_9:
	s_delay_alu instid0(SALU_CYCLE_1) | instskip(NEXT) | instid1(SALU_CYCLE_1)
	s_or_b32 exec_lo, exec_lo, s1
	s_mov_b32 s2, exec_lo
	v_cmpx_ne_u64_e64 v[8:9], v[6:7]
	s_cbranch_execz .LBB0_18
; %bb.10:
	s_clause 0x1
	global_load_b128 v[0:3], v[8:9], off
	global_load_b32 v22, v[8:9], off offset:16
	v_add_co_u32 v8, vcc_lo, v8, 20
	v_add_co_ci_u32_e32 v9, vcc_lo, 0, v9, vcc_lo
	v_mov_b32_e32 v20, 0
	s_delay_alu instid0(VALU_DEP_3) | instskip(NEXT) | instid1(VALU_DEP_3)
	v_sub_co_u32 v10, vcc_lo, v6, v8
	v_sub_co_ci_u32_e32 v11, vcc_lo, v7, v9, vcc_lo
	v_mov_b32_e32 v21, 0
	s_delay_alu instid0(VALU_DEP_4) | instskip(SKIP_1) | instid1(VALU_DEP_4)
	v_mov_b32_e32 v14, v20
	v_mov_b32_e32 v16, v20
	v_cmp_lt_i64_e32 vcc_lo, 19, v[10:11]
	s_delay_alu instid0(VALU_DEP_4)
	v_dual_mov_b32 v10, v20 :: v_dual_mov_b32 v11, v21
	v_mov_b32_e32 v15, v21
	v_dual_mov_b32 v17, v21 :: v_dual_mov_b32 v18, v20
	v_mov_b32_e32 v19, v21
	s_and_saveexec_b32 s3, vcc_lo
	s_cbranch_execz .LBB0_14
; %bb.11:
	v_mov_b32_e32 v10, 0
	v_mov_b32_e32 v11, 0
	s_add_u32 s0, s16, 0x800
	s_addc_u32 s1, s17, 0
	s_mov_b32 s4, 0
	s_movk_i32 s5, 0x1000
	v_dual_mov_b32 v15, v11 :: v_dual_mov_b32 v14, v10
	v_dual_mov_b32 v17, v11 :: v_dual_mov_b32 v16, v10
	v_dual_mov_b32 v19, v11 :: v_dual_mov_b32 v18, v10
	v_dual_mov_b32 v21, v11 :: v_dual_mov_b32 v20, v10
	s_movk_i32 s8, 0x1800
.LBB0_12:                               ; =>This Inner Loop Header: Depth=1
	s_waitcnt vmcnt(1)
	s_delay_alu instid0(VALU_DEP_1)
	v_xor3_b32 v0, v12, v20, v0
	s_waitcnt vmcnt(0)
	v_xor3_b32 v10, v15, v10, v22
	v_xor3_b32 v1, v13, v18, v1
	;; [unrolled: 1-line block ×4, first 2 shown]
	v_and_b32_e32 v12, 0xff, v0
	v_and_b32_e32 v20, 0xff, v10
	;; [unrolled: 1-line block ×3, first 2 shown]
	v_lshrrev_b32_e32 v21, 5, v0
	v_and_b32_e32 v14, 0xff, v2
	v_lshrrev_b32_e32 v22, 5, v1
	v_and_b32_e32 v16, 0xff, v3
	v_lshrrev_b32_e32 v23, 5, v2
	v_lshrrev_b32_e32 v24, 5, v3
	;; [unrolled: 1-line block ×5, first 2 shown]
	v_lshlrev_b32_e32 v12, 3, v12
	v_lshlrev_b32_e32 v20, 3, v20
	;; [unrolled: 1-line block ×3, first 2 shown]
	v_and_b32_e32 v21, 0x7f8, v21
	v_lshlrev_b32_e32 v17, 3, v14
	v_and_b32_e32 v22, 0x7f8, v22
	v_lshlrev_b32_e32 v18, 3, v16
	v_and_b32_e32 v29, 0x7f8, v23
	v_and_b32_e32 v31, 0x7f8, v24
	;; [unrolled: 1-line block ×3, first 2 shown]
	v_and_or_b32 v35, 0x7f8, v26, s5
	v_and_or_b32 v37, 0x7f8, v27, s5
	s_clause 0xb
	global_load_b64 v[12:13], v12, s[16:17]
	global_load_b64 v[14:15], v15, s[16:17]
	;; [unrolled: 1-line block ×12, first 2 shown]
	v_lshrrev_b32_e32 v20, 13, v2
	v_lshrrev_b32_e32 v21, 13, v3
	;; [unrolled: 1-line block ×5, first 2 shown]
	v_and_or_b32 v20, 0x7f8, v20, s5
	v_and_or_b32 v21, 0x7f8, v21, s5
	;; [unrolled: 1-line block ×3, first 2 shown]
	v_lshrrev_b32_e32 v2, 21, v2
	v_and_or_b32 v0, 0x7f8, v0, s8
	v_and_or_b32 v1, 0x7f8, v1, s8
	v_lshrrev_b32_e32 v3, 21, v3
	v_lshrrev_b32_e32 v10, 21, v10
	s_clause 0x2
	global_load_b64 v[39:40], v20, s[16:17]
	global_load_b64 v[41:42], v21, s[16:17]
	global_load_b64 v[43:44], v22, s[16:17]
	v_and_or_b32 v2, 0x7f8, v2, s8
	s_clause 0x1
	global_load_b64 v[45:46], v0, s[16:17]
	global_load_b64 v[47:48], v1, s[16:17]
	v_and_or_b32 v0, 0x7f8, v3, s8
	v_and_or_b32 v1, 0x7f8, v10, s8
	s_clause 0x2
	global_load_b64 v[49:50], v2, s[16:17]
	global_load_b64 v[51:52], v0, s[16:17]
	global_load_b64 v[53:54], v1, s[16:17]
	s_clause 0x1
	global_load_b128 v[0:3], v[8:9], off
	global_load_b32 v22, v[8:9], off offset:16
	v_add_co_u32 v8, vcc_lo, v8, 20
	v_add_co_ci_u32_e32 v9, vcc_lo, 0, v9, vcc_lo
	v_mov_b32_e32 v20, v11
	s_delay_alu instid0(VALU_DEP_3) | instskip(NEXT) | instid1(VALU_DEP_3)
	v_sub_co_u32 v55, vcc_lo, v6, v8
	v_sub_co_ci_u32_e32 v56, vcc_lo, v7, v9, vcc_lo
	s_delay_alu instid0(VALU_DEP_1)
	v_cmp_gt_i64_e32 vcc_lo, 20, v[55:56]
	s_or_b32 s4, vcc_lo, s4
	s_waitcnt vmcnt(16)
	v_xor_b32_e32 v10, v26, v13
	v_xor_b32_e32 v11, v25, v12
	s_waitcnt vmcnt(15)
	v_xor_b32_e32 v12, v28, v15
	v_xor_b32_e32 v13, v27, v14
	;; [unrolled: 3-line block ×15, first 2 shown]
	s_and_not1_b32 exec_lo, exec_lo, s4
	s_cbranch_execnz .LBB0_12
; %bb.13:
	s_or_b32 exec_lo, exec_lo, s4
.LBB0_14:
	s_delay_alu instid0(SALU_CYCLE_1) | instskip(SKIP_4) | instid1(VALU_DEP_1)
	s_or_b32 exec_lo, exec_lo, s3
	s_waitcnt vmcnt(1)
	v_xor3_b32 v0, v20, v12, v0
	s_movk_i32 s0, 0x1000
	s_movk_i32 s1, 0x1800
	v_and_b32_e32 v12, 0xff, v0
	v_lshrrev_b32_e32 v20, 5, v0
	v_lshrrev_b32_e32 v23, 13, v0
	;; [unrolled: 1-line block ×3, first 2 shown]
	s_delay_alu instid0(VALU_DEP_4) | instskip(NEXT) | instid1(VALU_DEP_4)
	v_lshlrev_b32_e32 v12, 3, v12
	v_and_b32_e32 v24, 0x7f8, v20
	s_delay_alu instid0(VALU_DEP_3)
	v_and_or_b32 v0, 0x7f8, v0, s1
	global_load_b64 v[20:21], v12, s[10:11]
	v_and_or_b32 v12, 0x7f8, v23, s0
	s_clause 0x2
	global_load_b64 v[23:24], v24, s[10:11] offset:2048
	global_load_b64 v[25:26], v12, s[10:11]
	global_load_b64 v[27:28], v0, s[10:11]
	v_mov_b32_e32 v0, v13
	s_delay_alu instid0(VALU_DEP_1) | instskip(SKIP_1) | instid1(VALU_DEP_1)
	v_xor_b32_e32 v0, v0, v18
	s_waitcnt vmcnt(3)
	v_xor_b32_e32 v0, v0, v20
	s_waitcnt vmcnt(2)
	s_delay_alu instid0(VALU_DEP_1) | instskip(SKIP_1) | instid1(VALU_DEP_1)
	v_xor_b32_e32 v0, v0, v23
	s_waitcnt vmcnt(1)
	v_xor_b32_e32 v0, v0, v25
	s_waitcnt vmcnt(0)
	s_delay_alu instid0(VALU_DEP_1) | instskip(NEXT) | instid1(VALU_DEP_1)
	v_xor_b32_e32 v0, v0, v27
	v_xor_b32_e32 v18, v1, v0
	s_delay_alu instid0(VALU_DEP_1) | instskip(SKIP_3) | instid1(VALU_DEP_4)
	v_and_b32_e32 v0, 0xff, v18
	v_lshrrev_b32_e32 v1, 5, v18
	v_lshrrev_b32_e32 v20, 13, v18
	;; [unrolled: 1-line block ×3, first 2 shown]
	v_lshlrev_b32_e32 v0, 3, v0
	s_delay_alu instid0(VALU_DEP_4) | instskip(NEXT) | instid1(VALU_DEP_4)
	v_and_b32_e32 v12, 0x7f8, v1
	v_and_or_b32 v20, 0x7f8, v20, s0
	s_delay_alu instid0(VALU_DEP_4)
	v_and_or_b32 v18, 0x7f8, v18, s1
	s_clause 0x3
	global_load_b64 v[0:1], v0, s[10:11]
	global_load_b64 v[12:13], v12, s[10:11] offset:2048
	global_load_b64 v[29:30], v20, s[10:11]
	global_load_b64 v[31:32], v18, s[10:11]
	v_xor_b32_e32 v18, v19, v21
	s_delay_alu instid0(VALU_DEP_1) | instskip(NEXT) | instid1(VALU_DEP_1)
	v_xor_b32_e32 v18, v18, v24
	v_xor_b32_e32 v18, v18, v26
	s_waitcnt vmcnt(3)
	v_xor_b32_e32 v0, v0, v16
	s_delay_alu instid0(VALU_DEP_2) | instskip(SKIP_1) | instid1(VALU_DEP_2)
	v_xor_b32_e32 v16, v18, v28
	s_waitcnt vmcnt(2)
	v_xor_b32_e32 v0, v0, v12
	s_delay_alu instid0(VALU_DEP_1) | instskip(SKIP_1) | instid1(VALU_DEP_1)
	v_xor_b32_e32 v0, v0, v16
	s_waitcnt vmcnt(1)
	v_xor_b32_e32 v0, v0, v29
	s_waitcnt vmcnt(0)
	s_delay_alu instid0(VALU_DEP_1) | instskip(NEXT) | instid1(VALU_DEP_1)
	v_xor_b32_e32 v0, v0, v31
	v_xor_b32_e32 v0, v2, v0
	s_delay_alu instid0(VALU_DEP_1) | instskip(SKIP_3) | instid1(VALU_DEP_4)
	v_and_b32_e32 v2, 0xff, v0
	v_lshrrev_b32_e32 v12, 5, v0
	v_lshrrev_b32_e32 v16, 13, v0
	;; [unrolled: 1-line block ×3, first 2 shown]
	v_lshlrev_b32_e32 v2, 3, v2
	s_delay_alu instid0(VALU_DEP_4) | instskip(NEXT) | instid1(VALU_DEP_3)
	v_and_b32_e32 v12, 0x7f8, v12
	v_and_or_b32 v0, 0x7f8, v0, s1
	s_clause 0x1
	global_load_b64 v[18:19], v2, s[10:11]
	global_load_b64 v[20:21], v12, s[10:11] offset:2048
	v_and_or_b32 v2, 0x7f8, v16, s0
	s_clause 0x1
	global_load_b64 v[23:24], v2, s[10:11]
	global_load_b64 v[25:26], v0, s[10:11]
	v_xor_b32_e32 v0, v1, v17
	s_delay_alu instid0(VALU_DEP_1) | instskip(NEXT) | instid1(VALU_DEP_1)
	v_xor_b32_e32 v0, v0, v13
	v_xor_b32_e32 v0, v0, v30
	s_delay_alu instid0(VALU_DEP_1) | instskip(SKIP_3) | instid1(VALU_DEP_1)
	v_xor_b32_e32 v0, v0, v32
	s_waitcnt vmcnt(3)
	v_xor_b32_e32 v1, v18, v14
	s_waitcnt vmcnt(2)
	;; [unrolled: 2-line block ×3, first 2 shown]
	s_delay_alu instid0(VALU_DEP_1) | instskip(SKIP_1) | instid1(VALU_DEP_1)
	v_xor_b32_e32 v1, v1, v23
	s_waitcnt vmcnt(0)
	v_xor_b32_e32 v1, v1, v25
	s_delay_alu instid0(VALU_DEP_1) | instskip(NEXT) | instid1(VALU_DEP_1)
	v_xor3_b32 v2, v1, v0, v3
	v_and_b32_e32 v0, 0xff, v2
	v_lshrrev_b32_e32 v1, 5, v2
	v_lshrrev_b32_e32 v3, 13, v2
	;; [unrolled: 1-line block ×3, first 2 shown]
	s_delay_alu instid0(VALU_DEP_4) | instskip(NEXT) | instid1(VALU_DEP_4)
	v_lshlrev_b32_e32 v0, 3, v0
	v_and_b32_e32 v12, 0x7f8, v1
	s_delay_alu instid0(VALU_DEP_4) | instskip(NEXT) | instid1(VALU_DEP_4)
	v_and_or_b32 v14, 0x7f8, v3, s0
	v_and_or_b32 v16, 0x7f8, v13, s1
	s_clause 0x3
	global_load_b64 v[0:1], v0, s[10:11]
	global_load_b64 v[2:3], v12, s[10:11] offset:2048
	global_load_b64 v[12:13], v14, s[10:11]
	global_load_b64 v[16:17], v16, s[10:11]
	v_xor_b32_e32 v14, v19, v15
	s_waitcnt vmcnt(3)
	v_xor_b32_e32 v0, v0, v10
	s_delay_alu instid0(VALU_DEP_2) | instskip(SKIP_1) | instid1(VALU_DEP_2)
	v_xor_b32_e32 v10, v14, v21
	s_waitcnt vmcnt(2)
	v_xor_b32_e32 v0, v0, v2
	s_delay_alu instid0(VALU_DEP_2) | instskip(SKIP_1) | instid1(VALU_DEP_2)
	v_xor_b32_e32 v2, v10, v24
	s_waitcnt vmcnt(1)
	v_xor_b32_e32 v0, v0, v12
	s_delay_alu instid0(VALU_DEP_2) | instskip(SKIP_1) | instid1(VALU_DEP_2)
	v_xor_b32_e32 v2, v2, v26
	s_waitcnt vmcnt(0)
	v_xor_b32_e32 v0, v0, v16
	s_delay_alu instid0(VALU_DEP_1) | instskip(NEXT) | instid1(VALU_DEP_1)
	v_xor3_b32 v0, v0, v2, v22
	v_and_b32_e32 v2, 0xff, v0
	v_lshrrev_b32_e32 v10, 5, v0
	v_lshrrev_b32_e32 v12, 13, v0
	;; [unrolled: 1-line block ×3, first 2 shown]
	s_delay_alu instid0(VALU_DEP_4) | instskip(NEXT) | instid1(VALU_DEP_4)
	v_lshlrev_b32_e32 v2, 3, v2
	v_and_b32_e32 v10, 0x7f8, v10
	s_delay_alu instid0(VALU_DEP_4) | instskip(NEXT) | instid1(VALU_DEP_4)
	v_and_or_b32 v12, 0x7f8, v12, s0
	v_and_or_b32 v0, 0x7f8, v0, s1
	s_mov_b32 s1, 0
	s_clause 0x3
	global_load_b64 v[14:15], v2, s[10:11]
	global_load_b64 v[18:19], v10, s[10:11] offset:2048
	global_load_b64 v[20:21], v12, s[10:11]
	global_load_b64 v[22:23], v0, s[10:11]
	v_xor_b32_e32 v0, v1, v11
	s_mov_b32 s0, exec_lo
	s_delay_alu instid0(VALU_DEP_1) | instskip(NEXT) | instid1(VALU_DEP_1)
	v_xor_b32_e32 v0, v0, v3
	v_xor_b32_e32 v0, v0, v13
	s_delay_alu instid0(VALU_DEP_1) | instskip(SKIP_4) | instid1(VALU_DEP_2)
	v_xor_b32_e32 v0, v0, v17
	s_waitcnt vmcnt(2)
	v_xor_b32_e32 v1, v18, v14
	v_xor_b32_e32 v2, v19, v15
	s_waitcnt vmcnt(1)
	v_xor_b32_e32 v1, v1, v20
	s_delay_alu instid0(VALU_DEP_2) | instskip(SKIP_1) | instid1(VALU_DEP_2)
	v_xor_b32_e32 v2, v2, v21
	s_waitcnt vmcnt(0)
	v_xor_b32_e32 v1, v1, v22
	s_delay_alu instid0(VALU_DEP_2) | instskip(NEXT) | instid1(VALU_DEP_2)
	v_xor_b32_e32 v13, v2, v23
	v_xor_b32_e32 v12, v1, v0
	v_cmpx_lt_u64_e64 v[8:9], v[6:7]
	s_cbranch_execz .LBB0_17
	.p2align	6
.LBB0_15:                               ; =>This Inner Loop Header: Depth=1
	global_load_u8 v0, v[8:9], off
	v_add_co_u32 v8, vcc_lo, v8, 1
	v_add_co_ci_u32_e32 v9, vcc_lo, 0, v9, vcc_lo
	v_lshrrev_b64 v[2:3], 8, v[12:13]
	s_delay_alu instid0(VALU_DEP_2) | instskip(SKIP_3) | instid1(VALU_DEP_1)
	v_cmp_ge_u64_e32 vcc_lo, v[8:9], v[6:7]
	s_or_b32 s1, vcc_lo, s1
	s_waitcnt vmcnt(0)
	v_xor_b32_e32 v0, v0, v12
	v_and_b32_e32 v0, 0xff, v0
	s_delay_alu instid0(VALU_DEP_1)
	v_lshl_or_b32 v0, v0, 3, 0x1800
	global_load_b64 v[0:1], v0, s[10:11]
	s_waitcnt vmcnt(0)
	v_xor_b32_e32 v13, v1, v3
	v_xor_b32_e32 v12, v0, v2
	s_and_not1_b32 exec_lo, exec_lo, s1
	s_cbranch_execnz .LBB0_15
; %bb.16:
	s_or_b32 exec_lo, exec_lo, s1
.LBB0_17:
	s_delay_alu instid0(SALU_CYCLE_1)
	s_or_b32 exec_lo, exec_lo, s0
.LBB0_18:
	s_delay_alu instid0(SALU_CYCLE_1)
	s_or_b32 exec_lo, exec_lo, s2
	v_add_co_u32 v2, vcc_lo, s6, v4
	v_not_b32_e32 v1, v13
	v_not_b32_e32 v0, v12
	v_add_co_ci_u32_e32 v3, vcc_lo, s7, v5, vcc_lo
	global_store_b64 v[2:3], v[0:1], off
	s_nop 0
	s_sendmsg sendmsg(MSG_DEALLOC_VGPRS)
	s_endpgm
.LBB0_19:
                                        ; implicit-def: $vgpr1_vgpr2
	s_load_b32 s0, s[0:1], 0x44
	s_branch .LBB0_2
	.section	.rodata,"a",@progbits
	.p2align	6, 0x0
	.amdhsa_kernel _Z12crc64_kernelPmS_PKhPKmS3_mi
		.amdhsa_group_segment_fixed_size 0
		.amdhsa_private_segment_fixed_size 0
		.amdhsa_kernarg_size 312
		.amdhsa_user_sgpr_count 15
		.amdhsa_user_sgpr_dispatch_ptr 0
		.amdhsa_user_sgpr_queue_ptr 0
		.amdhsa_user_sgpr_kernarg_segment_ptr 1
		.amdhsa_user_sgpr_dispatch_id 0
		.amdhsa_user_sgpr_private_segment_size 0
		.amdhsa_wavefront_size32 1
		.amdhsa_uses_dynamic_stack 0
		.amdhsa_enable_private_segment 0
		.amdhsa_system_sgpr_workgroup_id_x 1
		.amdhsa_system_sgpr_workgroup_id_y 0
		.amdhsa_system_sgpr_workgroup_id_z 0
		.amdhsa_system_sgpr_workgroup_info 0
		.amdhsa_system_vgpr_workitem_id 0
		.amdhsa_next_free_vgpr 57
		.amdhsa_next_free_sgpr 28
		.amdhsa_reserve_vcc 1
		.amdhsa_float_round_mode_32 0
		.amdhsa_float_round_mode_16_64 0
		.amdhsa_float_denorm_mode_32 3
		.amdhsa_float_denorm_mode_16_64 3
		.amdhsa_dx10_clamp 1
		.amdhsa_ieee_mode 1
		.amdhsa_fp16_overflow 0
		.amdhsa_workgroup_processor_mode 1
		.amdhsa_memory_ordered 1
		.amdhsa_forward_progress 0
		.amdhsa_shared_vgpr_count 0
		.amdhsa_exception_fp_ieee_invalid_op 0
		.amdhsa_exception_fp_denorm_src 0
		.amdhsa_exception_fp_ieee_div_zero 0
		.amdhsa_exception_fp_ieee_overflow 0
		.amdhsa_exception_fp_ieee_underflow 0
		.amdhsa_exception_fp_ieee_inexact 0
		.amdhsa_exception_int_div_zero 0
	.end_amdhsa_kernel
	.text
.Lfunc_end0:
	.size	_Z12crc64_kernelPmS_PKhPKmS3_mi, .Lfunc_end0-_Z12crc64_kernelPmS_PKhPKmS3_mi
                                        ; -- End function
	.section	.AMDGPU.csdata,"",@progbits
; Kernel info:
; codeLenInByte = 3192
; NumSgprs: 30
; NumVgprs: 57
; ScratchSize: 0
; MemoryBound: 0
; FloatMode: 240
; IeeeMode: 1
; LDSByteSize: 0 bytes/workgroup (compile time only)
; SGPRBlocks: 3
; VGPRBlocks: 7
; NumSGPRsForWavesPerEU: 30
; NumVGPRsForWavesPerEU: 57
; Occupancy: 16
; WaveLimiterHint : 1
; COMPUTE_PGM_RSRC2:SCRATCH_EN: 0
; COMPUTE_PGM_RSRC2:USER_SGPR: 15
; COMPUTE_PGM_RSRC2:TRAP_HANDLER: 0
; COMPUTE_PGM_RSRC2:TGID_X_EN: 1
; COMPUTE_PGM_RSRC2:TGID_Y_EN: 0
; COMPUTE_PGM_RSRC2:TGID_Z_EN: 0
; COMPUTE_PGM_RSRC2:TIDIG_COMP_CNT: 0
	.text
	.p2alignl 7, 3214868480
	.fill 96, 4, 3214868480
	.type	__hip_cuid_df37f11cc8ad0ed4,@object ; @__hip_cuid_df37f11cc8ad0ed4
	.section	.bss,"aw",@nobits
	.globl	__hip_cuid_df37f11cc8ad0ed4
__hip_cuid_df37f11cc8ad0ed4:
	.byte	0                               ; 0x0
	.size	__hip_cuid_df37f11cc8ad0ed4, 1

	.ident	"AMD clang version 19.0.0git (https://github.com/RadeonOpenCompute/llvm-project roc-6.4.0 25133 c7fe45cf4b819c5991fe208aaa96edf142730f1d)"
	.section	".note.GNU-stack","",@progbits
	.addrsig
	.addrsig_sym __hip_cuid_df37f11cc8ad0ed4
	.amdgpu_metadata
---
amdhsa.kernels:
  - .args:
      - .address_space:  global
        .offset:         0
        .size:           8
        .value_kind:     global_buffer
      - .address_space:  global
        .offset:         8
        .size:           8
        .value_kind:     global_buffer
      - .address_space:  global
        .offset:         16
        .size:           8
        .value_kind:     global_buffer
      - .address_space:  global
        .offset:         24
        .size:           8
        .value_kind:     global_buffer
      - .address_space:  global
        .offset:         32
        .size:           8
        .value_kind:     global_buffer
      - .offset:         40
        .size:           8
        .value_kind:     by_value
      - .offset:         48
        .size:           4
        .value_kind:     by_value
      - .offset:         56
        .size:           4
        .value_kind:     hidden_block_count_x
      - .offset:         60
        .size:           4
        .value_kind:     hidden_block_count_y
      - .offset:         64
        .size:           4
        .value_kind:     hidden_block_count_z
      - .offset:         68
        .size:           2
        .value_kind:     hidden_group_size_x
      - .offset:         70
        .size:           2
        .value_kind:     hidden_group_size_y
      - .offset:         72
        .size:           2
        .value_kind:     hidden_group_size_z
      - .offset:         74
        .size:           2
        .value_kind:     hidden_remainder_x
      - .offset:         76
        .size:           2
        .value_kind:     hidden_remainder_y
      - .offset:         78
        .size:           2
        .value_kind:     hidden_remainder_z
      - .offset:         96
        .size:           8
        .value_kind:     hidden_global_offset_x
      - .offset:         104
        .size:           8
        .value_kind:     hidden_global_offset_y
      - .offset:         112
        .size:           8
        .value_kind:     hidden_global_offset_z
      - .offset:         120
        .size:           2
        .value_kind:     hidden_grid_dims
    .group_segment_fixed_size: 0
    .kernarg_segment_align: 8
    .kernarg_segment_size: 312
    .language:       OpenCL C
    .language_version:
      - 2
      - 0
    .max_flat_workgroup_size: 1024
    .name:           _Z12crc64_kernelPmS_PKhPKmS3_mi
    .private_segment_fixed_size: 0
    .sgpr_count:     30
    .sgpr_spill_count: 0
    .symbol:         _Z12crc64_kernelPmS_PKhPKmS3_mi.kd
    .uniform_work_group_size: 1
    .uses_dynamic_stack: false
    .vgpr_count:     57
    .vgpr_spill_count: 0
    .wavefront_size: 32
    .workgroup_processor_mode: 1
amdhsa.target:   amdgcn-amd-amdhsa--gfx1100
amdhsa.version:
  - 1
  - 2
...

	.end_amdgpu_metadata
